;; amdgpu-corpus repo=ROCm/rocFFT kind=compiled arch=gfx906 opt=O3
	.text
	.amdgcn_target "amdgcn-amd-amdhsa--gfx906"
	.amdhsa_code_object_version 6
	.protected	fft_rtc_back_len1350_factors_5_10_3_3_3_wgs_135_tpt_135_halfLds_half_ip_CI_sbrr_dirReg ; -- Begin function fft_rtc_back_len1350_factors_5_10_3_3_3_wgs_135_tpt_135_halfLds_half_ip_CI_sbrr_dirReg
	.globl	fft_rtc_back_len1350_factors_5_10_3_3_3_wgs_135_tpt_135_halfLds_half_ip_CI_sbrr_dirReg
	.p2align	8
	.type	fft_rtc_back_len1350_factors_5_10_3_3_3_wgs_135_tpt_135_halfLds_half_ip_CI_sbrr_dirReg,@function
fft_rtc_back_len1350_factors_5_10_3_3_3_wgs_135_tpt_135_halfLds_half_ip_CI_sbrr_dirReg: ; @fft_rtc_back_len1350_factors_5_10_3_3_3_wgs_135_tpt_135_halfLds_half_ip_CI_sbrr_dirReg
; %bb.0:
	s_load_dwordx2 s[2:3], s[4:5], 0x18
	s_load_dwordx4 s[8:11], s[4:5], 0x0
	s_load_dwordx2 s[14:15], s[4:5], 0x50
	v_mul_u32_u24_e32 v1, 0x1e6, v0
	v_add_u32_sdwa v5, s6, v1 dst_sel:DWORD dst_unused:UNUSED_PAD src0_sel:DWORD src1_sel:WORD_1
	s_waitcnt lgkmcnt(0)
	s_load_dwordx2 s[12:13], s[2:3], 0x0
	v_cmp_lt_u64_e64 s[0:1], s[10:11], 2
	v_mov_b32_e32 v3, 0
	v_mov_b32_e32 v1, 0
	;; [unrolled: 1-line block ×3, first 2 shown]
	s_and_b64 vcc, exec, s[0:1]
	v_mov_b32_e32 v2, 0
	s_cbranch_vccnz .LBB0_8
; %bb.1:
	s_load_dwordx2 s[0:1], s[4:5], 0x10
	s_add_u32 s6, s2, 8
	s_addc_u32 s7, s3, 0
	v_mov_b32_e32 v1, 0
	v_mov_b32_e32 v2, 0
	s_waitcnt lgkmcnt(0)
	s_add_u32 s16, s0, 8
	s_addc_u32 s17, s1, 0
	s_mov_b64 s[18:19], 1
.LBB0_2:                                ; =>This Inner Loop Header: Depth=1
	s_load_dwordx2 s[20:21], s[16:17], 0x0
                                        ; implicit-def: $vgpr7_vgpr8
	s_waitcnt lgkmcnt(0)
	v_or_b32_e32 v4, s21, v6
	v_cmp_ne_u64_e32 vcc, 0, v[3:4]
	s_and_saveexec_b64 s[0:1], vcc
	s_xor_b64 s[22:23], exec, s[0:1]
	s_cbranch_execz .LBB0_4
; %bb.3:                                ;   in Loop: Header=BB0_2 Depth=1
	v_cvt_f32_u32_e32 v4, s20
	v_cvt_f32_u32_e32 v7, s21
	s_sub_u32 s0, 0, s20
	s_subb_u32 s1, 0, s21
	v_mac_f32_e32 v4, 0x4f800000, v7
	v_rcp_f32_e32 v4, v4
	v_mul_f32_e32 v4, 0x5f7ffffc, v4
	v_mul_f32_e32 v7, 0x2f800000, v4
	v_trunc_f32_e32 v7, v7
	v_mac_f32_e32 v4, 0xcf800000, v7
	v_cvt_u32_f32_e32 v7, v7
	v_cvt_u32_f32_e32 v4, v4
	v_mul_lo_u32 v8, s0, v7
	v_mul_hi_u32 v9, s0, v4
	v_mul_lo_u32 v11, s1, v4
	v_mul_lo_u32 v10, s0, v4
	v_add_u32_e32 v8, v9, v8
	v_add_u32_e32 v8, v8, v11
	v_mul_hi_u32 v9, v4, v10
	v_mul_lo_u32 v11, v4, v8
	v_mul_hi_u32 v13, v4, v8
	v_mul_hi_u32 v12, v7, v10
	v_mul_lo_u32 v10, v7, v10
	v_mul_hi_u32 v14, v7, v8
	v_add_co_u32_e32 v9, vcc, v9, v11
	v_addc_co_u32_e32 v11, vcc, 0, v13, vcc
	v_mul_lo_u32 v8, v7, v8
	v_add_co_u32_e32 v9, vcc, v9, v10
	v_addc_co_u32_e32 v9, vcc, v11, v12, vcc
	v_addc_co_u32_e32 v10, vcc, 0, v14, vcc
	v_add_co_u32_e32 v8, vcc, v9, v8
	v_addc_co_u32_e32 v9, vcc, 0, v10, vcc
	v_add_co_u32_e32 v4, vcc, v4, v8
	v_addc_co_u32_e32 v7, vcc, v7, v9, vcc
	v_mul_lo_u32 v8, s0, v7
	v_mul_hi_u32 v9, s0, v4
	v_mul_lo_u32 v10, s1, v4
	v_mul_lo_u32 v11, s0, v4
	v_add_u32_e32 v8, v9, v8
	v_add_u32_e32 v8, v8, v10
	v_mul_lo_u32 v12, v4, v8
	v_mul_hi_u32 v13, v4, v11
	v_mul_hi_u32 v14, v4, v8
	;; [unrolled: 1-line block ×3, first 2 shown]
	v_mul_lo_u32 v11, v7, v11
	v_mul_hi_u32 v9, v7, v8
	v_add_co_u32_e32 v12, vcc, v13, v12
	v_addc_co_u32_e32 v13, vcc, 0, v14, vcc
	v_mul_lo_u32 v8, v7, v8
	v_add_co_u32_e32 v11, vcc, v12, v11
	v_addc_co_u32_e32 v10, vcc, v13, v10, vcc
	v_addc_co_u32_e32 v9, vcc, 0, v9, vcc
	v_add_co_u32_e32 v8, vcc, v10, v8
	v_addc_co_u32_e32 v9, vcc, 0, v9, vcc
	v_add_co_u32_e32 v4, vcc, v4, v8
	v_addc_co_u32_e32 v9, vcc, v7, v9, vcc
	v_mad_u64_u32 v[7:8], s[0:1], v5, v9, 0
	v_mul_hi_u32 v10, v5, v4
	v_add_co_u32_e32 v11, vcc, v10, v7
	v_addc_co_u32_e32 v12, vcc, 0, v8, vcc
	v_mad_u64_u32 v[7:8], s[0:1], v6, v4, 0
	v_mad_u64_u32 v[9:10], s[0:1], v6, v9, 0
	v_add_co_u32_e32 v4, vcc, v11, v7
	v_addc_co_u32_e32 v4, vcc, v12, v8, vcc
	v_addc_co_u32_e32 v7, vcc, 0, v10, vcc
	v_add_co_u32_e32 v4, vcc, v4, v9
	v_addc_co_u32_e32 v9, vcc, 0, v7, vcc
	v_mul_lo_u32 v10, s21, v4
	v_mul_lo_u32 v11, s20, v9
	v_mad_u64_u32 v[7:8], s[0:1], s20, v4, 0
	v_add3_u32 v8, v8, v11, v10
	v_sub_u32_e32 v10, v6, v8
	v_mov_b32_e32 v11, s21
	v_sub_co_u32_e32 v7, vcc, v5, v7
	v_subb_co_u32_e64 v10, s[0:1], v10, v11, vcc
	v_subrev_co_u32_e64 v11, s[0:1], s20, v7
	v_subbrev_co_u32_e64 v10, s[0:1], 0, v10, s[0:1]
	v_cmp_le_u32_e64 s[0:1], s21, v10
	v_cndmask_b32_e64 v12, 0, -1, s[0:1]
	v_cmp_le_u32_e64 s[0:1], s20, v11
	v_cndmask_b32_e64 v11, 0, -1, s[0:1]
	v_cmp_eq_u32_e64 s[0:1], s21, v10
	v_cndmask_b32_e64 v10, v12, v11, s[0:1]
	v_add_co_u32_e64 v11, s[0:1], 2, v4
	v_addc_co_u32_e64 v12, s[0:1], 0, v9, s[0:1]
	v_add_co_u32_e64 v13, s[0:1], 1, v4
	v_addc_co_u32_e64 v14, s[0:1], 0, v9, s[0:1]
	v_subb_co_u32_e32 v8, vcc, v6, v8, vcc
	v_cmp_ne_u32_e64 s[0:1], 0, v10
	v_cmp_le_u32_e32 vcc, s21, v8
	v_cndmask_b32_e64 v10, v14, v12, s[0:1]
	v_cndmask_b32_e64 v12, 0, -1, vcc
	v_cmp_le_u32_e32 vcc, s20, v7
	v_cndmask_b32_e64 v7, 0, -1, vcc
	v_cmp_eq_u32_e32 vcc, s21, v8
	v_cndmask_b32_e32 v7, v12, v7, vcc
	v_cmp_ne_u32_e32 vcc, 0, v7
	v_cndmask_b32_e64 v7, v13, v11, s[0:1]
	v_cndmask_b32_e32 v8, v9, v10, vcc
	v_cndmask_b32_e32 v7, v4, v7, vcc
.LBB0_4:                                ;   in Loop: Header=BB0_2 Depth=1
	s_andn2_saveexec_b64 s[0:1], s[22:23]
	s_cbranch_execz .LBB0_6
; %bb.5:                                ;   in Loop: Header=BB0_2 Depth=1
	v_cvt_f32_u32_e32 v4, s20
	s_sub_i32 s22, 0, s20
	v_rcp_iflag_f32_e32 v4, v4
	v_mul_f32_e32 v4, 0x4f7ffffe, v4
	v_cvt_u32_f32_e32 v4, v4
	v_mul_lo_u32 v7, s22, v4
	v_mul_hi_u32 v7, v4, v7
	v_add_u32_e32 v4, v4, v7
	v_mul_hi_u32 v4, v5, v4
	v_mul_lo_u32 v7, v4, s20
	v_add_u32_e32 v8, 1, v4
	v_sub_u32_e32 v7, v5, v7
	v_subrev_u32_e32 v9, s20, v7
	v_cmp_le_u32_e32 vcc, s20, v7
	v_cndmask_b32_e32 v7, v7, v9, vcc
	v_cndmask_b32_e32 v4, v4, v8, vcc
	v_add_u32_e32 v8, 1, v4
	v_cmp_le_u32_e32 vcc, s20, v7
	v_cndmask_b32_e32 v7, v4, v8, vcc
	v_mov_b32_e32 v8, v3
.LBB0_6:                                ;   in Loop: Header=BB0_2 Depth=1
	s_or_b64 exec, exec, s[0:1]
	v_mul_lo_u32 v4, v8, s20
	v_mul_lo_u32 v11, v7, s21
	v_mad_u64_u32 v[9:10], s[0:1], v7, s20, 0
	s_load_dwordx2 s[0:1], s[6:7], 0x0
	s_add_u32 s18, s18, 1
	v_add3_u32 v4, v10, v11, v4
	v_sub_co_u32_e32 v5, vcc, v5, v9
	v_subb_co_u32_e32 v4, vcc, v6, v4, vcc
	s_waitcnt lgkmcnt(0)
	v_mul_lo_u32 v4, s0, v4
	v_mul_lo_u32 v6, s1, v5
	v_mad_u64_u32 v[1:2], s[0:1], s0, v5, v[1:2]
	s_addc_u32 s19, s19, 0
	s_add_u32 s6, s6, 8
	v_add3_u32 v2, v6, v2, v4
	v_mov_b32_e32 v4, s10
	v_mov_b32_e32 v5, s11
	s_addc_u32 s7, s7, 0
	v_cmp_ge_u64_e32 vcc, s[18:19], v[4:5]
	s_add_u32 s16, s16, 8
	s_addc_u32 s17, s17, 0
	s_cbranch_vccnz .LBB0_9
; %bb.7:                                ;   in Loop: Header=BB0_2 Depth=1
	v_mov_b32_e32 v5, v7
	v_mov_b32_e32 v6, v8
	s_branch .LBB0_2
.LBB0_8:
	v_mov_b32_e32 v8, v6
	v_mov_b32_e32 v7, v5
.LBB0_9:
	s_lshl_b64 s[0:1], s[10:11], 3
	s_add_u32 s0, s2, s0
	s_addc_u32 s1, s3, s1
	s_load_dwordx2 s[2:3], s[0:1], 0x0
	s_load_dwordx2 s[6:7], s[4:5], 0x20
	s_waitcnt lgkmcnt(0)
	v_mad_u64_u32 v[1:2], s[0:1], s2, v7, v[1:2]
	s_mov_b32 s0, 0x1e573ad
	v_mul_lo_u32 v3, s2, v8
	v_mul_lo_u32 v4, s3, v7
	v_mul_hi_u32 v5, v0, s0
	v_cmp_gt_u64_e32 vcc, s[6:7], v[7:8]
	v_cmp_le_u64_e64 s[0:1], s[6:7], v[7:8]
	v_add3_u32 v2, v4, v2, v3
	v_mul_u32_u24_e32 v3, 0x87, v5
	v_sub_u32_e32 v6, v0, v3
                                        ; implicit-def: $vgpr8
                                        ; implicit-def: $vgpr4
                                        ; implicit-def: $vgpr7
	s_and_saveexec_b64 s[2:3], s[0:1]
	s_xor_b64 s[0:1], exec, s[2:3]
; %bb.10:
	v_add_u32_e32 v8, 0x87, v6
	v_add_u32_e32 v4, 0x10e, v6
	;; [unrolled: 1-line block ×3, first 2 shown]
; %bb.11:
	s_or_saveexec_b64 s[2:3], s[0:1]
	v_lshlrev_b64 v[0:1], 2, v[1:2]
                                        ; implicit-def: $vgpr15
                                        ; implicit-def: $vgpr20
                                        ; implicit-def: $vgpr16
                                        ; implicit-def: $vgpr19
                                        ; implicit-def: $vgpr17
                                        ; implicit-def: $vgpr13
                                        ; implicit-def: $vgpr18
                                        ; implicit-def: $vgpr14
                                        ; implicit-def: $vgpr21
                                        ; implicit-def: $vgpr2
                                        ; implicit-def: $vgpr11
                                        ; implicit-def: $vgpr5
                                        ; implicit-def: $vgpr12
                                        ; implicit-def: $vgpr3
                                        ; implicit-def: $vgpr23
                                        ; implicit-def: $vgpr9
                                        ; implicit-def: $vgpr24
                                        ; implicit-def: $vgpr10
                                        ; implicit-def: $vgpr25
                                        ; implicit-def: $vgpr22
	s_xor_b64 exec, exec, s[2:3]
	s_cbranch_execz .LBB0_13
; %bb.12:
	v_mad_u64_u32 v[2:3], s[0:1], s12, v6, 0
	v_mov_b32_e32 v5, s15
	v_add_u32_e32 v13, 0x21c, v6
	v_mad_u64_u32 v[3:4], s[0:1], s13, v6, v[3:4]
	v_add_u32_e32 v4, 0x10e, v6
	v_mad_u64_u32 v[7:8], s[0:1], s12, v4, 0
	v_add_co_u32_e64 v35, s[0:1], s14, v0
	v_addc_co_u32_e64 v36, s[0:1], v5, v1, s[0:1]
	v_mov_b32_e32 v5, v8
	v_mad_u64_u32 v[8:9], s[0:1], s13, v4, v[5:6]
	v_mad_u64_u32 v[9:10], s[0:1], s12, v13, 0
	v_lshlrev_b64 v[2:3], 2, v[2:3]
	v_add_u32_e32 v37, 0x4bf, v6
	v_add_co_u32_e64 v11, s[0:1], v35, v2
	v_mov_b32_e32 v5, v10
	v_addc_co_u32_e64 v12, s[0:1], v36, v3, s[0:1]
	v_lshlrev_b64 v[2:3], 2, v[7:8]
	v_mad_u64_u32 v[7:8], s[0:1], s13, v13, v[5:6]
	v_add_u32_e32 v8, 0x32a, v6
	v_mad_u64_u32 v[13:14], s[0:1], s12, v8, 0
	v_add_co_u32_e64 v15, s[0:1], v35, v2
	v_mov_b32_e32 v5, v14
	v_addc_co_u32_e64 v16, s[0:1], v36, v3, s[0:1]
	v_mov_b32_e32 v10, v7
	v_mad_u64_u32 v[7:8], s[0:1], s13, v8, v[5:6]
	v_add_u32_e32 v8, 0x438, v6
	v_lshlrev_b64 v[2:3], 2, v[9:10]
	v_mad_u64_u32 v[9:10], s[0:1], s12, v8, 0
	v_add_co_u32_e64 v17, s[0:1], v35, v2
	v_mov_b32_e32 v5, v10
	v_addc_co_u32_e64 v18, s[0:1], v36, v3, s[0:1]
	v_mov_b32_e32 v14, v7
	v_mad_u64_u32 v[7:8], s[0:1], s13, v8, v[5:6]
	v_add_u32_e32 v8, 0x87, v6
	v_lshlrev_b64 v[2:3], 2, v[13:14]
	v_mad_u64_u32 v[13:14], s[0:1], s12, v8, 0
	v_add_co_u32_e64 v19, s[0:1], v35, v2
	v_mov_b32_e32 v10, v7
	v_add_u32_e32 v7, 0x195, v6
	v_addc_co_u32_e64 v20, s[0:1], v36, v3, s[0:1]
	v_mov_b32_e32 v5, v14
	v_mad_u64_u32 v[21:22], s[0:1], s12, v7, 0
	v_lshlrev_b64 v[2:3], 2, v[9:10]
	v_mad_u64_u32 v[9:10], s[0:1], s13, v8, v[5:6]
	v_add_co_u32_e64 v23, s[0:1], v35, v2
	v_mov_b32_e32 v5, v22
	v_addc_co_u32_e64 v24, s[0:1], v36, v3, s[0:1]
	v_mov_b32_e32 v14, v9
	v_mad_u64_u32 v[9:10], s[0:1], s13, v7, v[5:6]
	v_add_u32_e32 v10, 0x2a3, v6
	v_lshlrev_b64 v[2:3], 2, v[13:14]
	v_mad_u64_u32 v[13:14], s[0:1], s12, v10, 0
	v_add_co_u32_e64 v25, s[0:1], v35, v2
	v_mov_b32_e32 v5, v14
	v_addc_co_u32_e64 v26, s[0:1], v36, v3, s[0:1]
	v_mov_b32_e32 v22, v9
	v_mad_u64_u32 v[9:10], s[0:1], s13, v10, v[5:6]
	v_lshlrev_b64 v[2:3], 2, v[21:22]
	v_add_u32_e32 v5, 0x3b1, v6
	v_add_co_u32_e64 v27, s[0:1], v35, v2
	v_mov_b32_e32 v14, v9
	v_addc_co_u32_e64 v28, s[0:1], v36, v3, s[0:1]
	v_lshlrev_b64 v[2:3], 2, v[13:14]
	v_mad_u64_u32 v[29:30], s[0:1], s12, v5, 0
	v_add_co_u32_e64 v31, s[0:1], v35, v2
	v_addc_co_u32_e64 v32, s[0:1], v36, v3, s[0:1]
	v_mad_u64_u32 v[33:34], s[0:1], s12, v37, 0
	v_mov_b32_e32 v2, v30
	v_mad_u64_u32 v[21:22], s[0:1], s13, v5, v[2:3]
	global_load_dword v22, v[11:12], off
	global_load_dword v10, v[15:16], off
	;; [unrolled: 1-line block ×8, first 2 shown]
	v_mov_b32_e32 v15, v34
	v_mad_u64_u32 v[15:16], s[0:1], s13, v37, v[15:16]
	v_mov_b32_e32 v30, v21
	v_lshlrev_b64 v[11:12], 2, v[29:30]
	v_mov_b32_e32 v34, v15
	v_add_co_u32_e64 v11, s[0:1], v35, v11
	v_lshlrev_b64 v[15:16], 2, v[33:34]
	v_addc_co_u32_e64 v12, s[0:1], v36, v12, s[0:1]
	v_add_co_u32_e64 v15, s[0:1], v35, v15
	v_addc_co_u32_e64 v16, s[0:1], v36, v16, s[0:1]
	global_load_dword v19, v[11:12], off
	global_load_dword v20, v[15:16], off
	s_waitcnt vmcnt(9)
	v_lshrrev_b32_e32 v25, 16, v22
	s_waitcnt vmcnt(8)
	v_lshrrev_b32_e32 v24, 16, v10
	;; [unrolled: 2-line block ×10, first 2 shown]
.LBB0_13:
	s_or_b64 exec, exec, s[2:3]
	v_add_f16_e32 v26, v3, v9
	v_fma_f16 v26, v26, -0.5, v22
	v_sub_f16_e32 v27, v24, v11
	s_mov_b32 s6, 0xbb9c
	v_sub_f16_e32 v28, v10, v9
	v_sub_f16_e32 v29, v5, v3
	s_movk_i32 s5, 0x3b9c
	v_add_f16_e32 v28, v29, v28
	v_fma_f16 v29, v27, s6, v26
	s_mov_b32 s7, 0xb8b4
	v_sub_f16_e32 v30, v23, v12
	v_fma_f16 v26, v27, s5, v26
	s_movk_i32 s4, 0x38b4
	v_fma_f16 v29, v30, s7, v29
	s_movk_i32 s10, 0x34f2
	v_fma_f16 v26, v30, s4, v26
	v_fma_f16 v29, v28, s10, v29
	;; [unrolled: 1-line block ×3, first 2 shown]
	v_sub_f16_e32 v28, v9, v10
	v_sub_f16_e32 v31, v3, v5
	v_add_f16_e32 v28, v31, v28
	v_add_f16_e32 v31, v5, v10
	v_fma_f16 v31, v31, -0.5, v22
	v_add_f16_e32 v22, v10, v22
	v_add_f16_e32 v22, v9, v22
	v_fma_f16 v32, v30, s5, v31
	v_fma_f16 v30, v30, s6, v31
	v_add_f16_e32 v22, v3, v22
	v_fma_f16 v31, v27, s7, v32
	v_fma_f16 v27, v27, s4, v30
	v_add_f16_e32 v22, v5, v22
	v_sub_f16_e32 v30, v10, v5
	v_sub_f16_e32 v32, v9, v3
	;; [unrolled: 1-line block ×4, first 2 shown]
	v_add_f16_e32 v33, v5, v3
	v_add_f16_e32 v5, v24, v25
	;; [unrolled: 1-line block ×4, first 2 shown]
	v_fma_f16 v34, v3, -0.5, v25
	v_add_f16_e32 v3, v11, v24
	v_add_f16_e32 v5, v12, v5
	v_fma_f16 v3, v3, -0.5, v25
	v_sub_f16_e32 v9, v23, v24
	v_add_f16_e32 v24, v11, v5
	v_sub_f16_e32 v5, v12, v11
	v_add_f16_e32 v5, v5, v9
	v_fma_f16 v9, v32, s6, v3
	v_fma_f16 v3, v32, s5, v3
	v_fma_f16 v3, v30, s7, v3
	v_fma_f16 v9, v30, s4, v9
	v_fma_f16 v25, v5, s10, v3
	v_add_f16_e32 v3, v19, v13
	v_mul_f16_e32 v10, 0x34f2, v28
	v_fma_f16 v23, v5, s10, v9
	v_fma_f16 v5, v3, -0.5, v2
	v_pack_b32_f16 v3, v31, v27
	v_pk_add_f16 v10, v10, v3 op_sel_hi:[0,1]
	v_pack_b32_f16 v9, v22, v29
	v_mad_u32_u24 v3, v6, 10, 0
	v_sub_f16_e32 v11, v18, v15
	ds_write_b64 v3, v[9:10]
	v_sub_f16_e32 v9, v14, v13
	v_sub_f16_e32 v10, v20, v19
	v_fma_f16 v12, v11, s6, v5
	v_add_f16_e32 v9, v10, v9
	v_sub_f16_e32 v10, v17, v16
	v_fma_f16 v5, v11, s5, v5
	v_fma_f16 v12, v10, s7, v12
	;; [unrolled: 1-line block ×5, first 2 shown]
	v_sub_f16_e32 v9, v13, v14
	v_sub_f16_e32 v22, v19, v20
	v_add_f16_e32 v9, v22, v9
	v_add_f16_e32 v22, v20, v14
	v_fma_f16 v22, v22, -0.5, v2
	v_fma_f16 v27, v10, s5, v22
	v_fma_f16 v10, v10, s6, v22
	v_add_f16_e32 v2, v14, v2
	v_fma_f16 v22, v11, s7, v27
	v_fma_f16 v10, v11, s4, v10
	;; [unrolled: 1-line block ×3, first 2 shown]
	v_add_f16_e32 v2, v13, v2
	v_fma_f16 v11, v32, s4, v11
	v_add_f16_e32 v2, v19, v2
	ds_write_b16 v3, v26 offset:8
	v_fma_f16 v26, v33, s10, v11
	v_add_f16_e32 v11, v20, v2
	v_mul_f16_e32 v9, 0x34f2, v9
	v_pack_b32_f16 v10, v22, v10
	v_mad_i32_i24 v2, v8, 10, 0
	v_pk_add_f16 v10, v9, v10 op_sel_hi:[0,1]
	v_pack_b32_f16 v9, v11, v12
	v_sub_f16_e32 v14, v14, v20
	v_sub_f16_e32 v13, v13, v19
	;; [unrolled: 1-line block ×4, first 2 shown]
	ds_write_b64 v2, v[9:10]
	ds_write_b16 v2, v5 offset:8
	v_lshlrev_b32_e32 v10, 3, v6
	v_add_f16_e32 v19, v20, v19
	v_add_f16_e32 v20, v16, v17
	v_sub_u32_e32 v12, v3, v10
	v_lshlrev_b32_e32 v11, 3, v8
	v_lshl_add_u32 v5, v4, 1, 0
	v_pack_b32_f16 v23, v23, v25
	v_pack_b32_f16 v22, v24, v26
	v_fma_f16 v20, v20, -0.5, v21
	s_waitcnt lgkmcnt(0)
	s_barrier
	v_sub_u32_e32 v29, v2, v11
	ds_read_u16 v24, v5
	v_lshl_add_u32 v9, v7, 1, 0
	ds_read_u16 v26, v12 offset:1350
	ds_read_u16 v27, v12 offset:1620
	;; [unrolled: 1-line block ×5, first 2 shown]
	ds_read_u16 v38, v12
	ds_read_u16 v28, v9
	;; [unrolled: 1-line block ×3, first 2 shown]
	ds_read_u16 v39, v12 offset:2430
	s_waitcnt lgkmcnt(0)
	s_barrier
	ds_write_b64 v3, v[22:23]
	v_fma_f16 v23, v14, s5, v20
	v_fma_f16 v20, v14, s6, v20
	;; [unrolled: 1-line block ×6, first 2 shown]
	v_add_f16_e32 v20, v15, v18
	v_fma_f16 v20, v20, -0.5, v21
	v_add_f16_e32 v21, v18, v21
	v_add_f16_e32 v21, v17, v21
	v_sub_f16_e32 v17, v17, v18
	v_add_f16_e32 v18, v16, v21
	v_add_f16_e32 v18, v15, v18
	v_sub_f16_e32 v15, v16, v15
	v_fma_f16 v16, v13, s6, v20
	v_fma_f16 v13, v13, s5, v20
	;; [unrolled: 1-line block ×3, first 2 shown]
	v_add_f16_e32 v15, v15, v17
	v_fma_f16 v16, v14, s4, v16
	v_fma_f16 v13, v14, s7, v13
	;; [unrolled: 1-line block ×6, first 2 shown]
	v_pack_b32_f16 v14, v14, v13
	v_pack_b32_f16 v13, v18, v23
	s_movk_i32 s0, 0xcd
	ds_write_b16 v3, v22 offset:8
	ds_write_b64 v2, v[13:14]
	ds_write_b16 v2, v19 offset:8
	v_mul_lo_u16_sdwa v13, v6, s0 dst_sel:DWORD dst_unused:UNUSED_PAD src0_sel:BYTE_0 src1_sel:DWORD
	v_lshrrev_b16_e32 v23, 10, v13
	v_mul_lo_u16_e32 v13, 5, v23
	v_sub_u16_e32 v42, v6, v13
	v_mov_b32_e32 v13, 9
	v_mul_u32_u24_sdwa v13, v42, v13 dst_sel:DWORD dst_unused:UNUSED_PAD src0_sel:BYTE_0 src1_sel:DWORD
	v_lshlrev_b32_e32 v13, 2, v13
	s_waitcnt lgkmcnt(0)
	s_barrier
	global_load_dwordx4 v[14:17], v13, s[8:9]
	global_load_dwordx4 v[32:35], v13, s[8:9] offset:16
	global_load_dword v40, v13, s[8:9] offset:32
	ds_read_u16 v13, v29
	ds_read_u16 v41, v12 offset:2430
	s_movk_i32 s0, 0x3a79
	v_mul_u32_u24_e32 v23, 0x64, v23
	v_sub_u32_e32 v10, 0, v10
	v_add_u32_e32 v10, v3, v10
	v_sub_u32_e32 v11, 0, v11
	s_waitcnt vmcnt(2) lgkmcnt(1)
	v_mul_f16_sdwa v18, v13, v14 dst_sel:DWORD dst_unused:UNUSED_PAD src0_sel:DWORD src1_sel:WORD_1
	v_fma_f16 v43, v25, v14, v18
	v_mul_f16_sdwa v18, v25, v14 dst_sel:DWORD dst_unused:UNUSED_PAD src0_sel:DWORD src1_sel:WORD_1
	v_fma_f16 v13, v13, v14, -v18
	ds_read_u16 v14, v5
	ds_read_u16 v20, v9
	ds_read_u16 v22, v12 offset:1350
	ds_read_u16 v30, v12 offset:1620
	;; [unrolled: 1-line block ×5, first 2 shown]
	ds_read_u16 v18, v12
	s_waitcnt lgkmcnt(7)
	v_mul_f16_sdwa v19, v14, v15 dst_sel:DWORD dst_unused:UNUSED_PAD src0_sel:DWORD src1_sel:WORD_1
	v_fma_f16 v25, v24, v15, v19
	v_mul_f16_sdwa v19, v24, v15 dst_sel:DWORD dst_unused:UNUSED_PAD src0_sel:DWORD src1_sel:WORD_1
	v_fma_f16 v19, v14, v15, -v19
	s_waitcnt lgkmcnt(6)
	v_mul_f16_sdwa v14, v20, v16 dst_sel:DWORD dst_unused:UNUSED_PAD src0_sel:DWORD src1_sel:WORD_1
	v_mul_f16_sdwa v15, v28, v16 dst_sel:DWORD dst_unused:UNUSED_PAD src0_sel:DWORD src1_sel:WORD_1
	v_fma_f16 v14, v28, v16, v14
	v_fma_f16 v16, v20, v16, -v15
	s_waitcnt lgkmcnt(1)
	v_mul_f16_sdwa v15, v21, v17 dst_sel:DWORD dst_unused:UNUSED_PAD src0_sel:DWORD src1_sel:WORD_1
	v_fma_f16 v28, v37, v17, v15
	v_mul_f16_sdwa v15, v37, v17 dst_sel:DWORD dst_unused:UNUSED_PAD src0_sel:DWORD src1_sel:WORD_1
	v_fma_f16 v21, v21, v17, -v15
	s_waitcnt vmcnt(1)
	v_mul_f16_sdwa v17, v26, v32 dst_sel:DWORD dst_unused:UNUSED_PAD src0_sel:DWORD src1_sel:WORD_1
	v_mul_f16_sdwa v15, v22, v32 dst_sel:DWORD dst_unused:UNUSED_PAD src0_sel:DWORD src1_sel:WORD_1
	v_fma_f16 v20, v22, v32, -v17
	v_mul_f16_sdwa v17, v30, v33 dst_sel:DWORD dst_unused:UNUSED_PAD src0_sel:DWORD src1_sel:WORD_1
	v_fma_f16 v15, v26, v32, v15
	v_fma_f16 v32, v27, v33, v17
	v_mul_f16_sdwa v17, v27, v33 dst_sel:DWORD dst_unused:UNUSED_PAD src0_sel:DWORD src1_sel:WORD_1
	v_fma_f16 v26, v30, v33, -v17
	v_mul_f16_sdwa v17, v44, v34 dst_sel:DWORD dst_unused:UNUSED_PAD src0_sel:DWORD src1_sel:WORD_1
	v_mul_f16_sdwa v22, v31, v34 dst_sel:DWORD dst_unused:UNUSED_PAD src0_sel:DWORD src1_sel:WORD_1
	;; [unrolled: 1-line block ×3, first 2 shown]
	v_fma_f16 v17, v31, v34, v17
	v_fma_f16 v22, v44, v34, -v22
	v_fma_f16 v34, v36, v35, v24
	v_mul_f16_sdwa v24, v36, v35 dst_sel:DWORD dst_unused:UNUSED_PAD src0_sel:DWORD src1_sel:WORD_1
	v_sub_f16_e32 v31, v25, v28
	v_sub_f16_e32 v33, v34, v32
	v_fma_f16 v30, v45, v35, -v24
	v_add_f16_e32 v31, v31, v33
	v_add_f16_e32 v33, v28, v32
	v_fma_f16 v33, v33, -0.5, v38
	v_sub_f16_e32 v35, v19, v30
	v_fma_f16 v36, v35, s6, v33
	v_sub_f16_e32 v37, v21, v26
	v_fma_f16 v33, v35, s5, v33
	v_fma_f16 v36, v37, s7, v36
	;; [unrolled: 1-line block ×5, first 2 shown]
	v_sub_f16_e32 v33, v28, v25
	v_sub_f16_e32 v36, v32, v34
	v_add_f16_e32 v33, v33, v36
	v_add_f16_e32 v36, v25, v34
	s_waitcnt vmcnt(0)
	v_mul_f16_sdwa v24, v41, v40 dst_sel:DWORD dst_unused:UNUSED_PAD src0_sel:DWORD src1_sel:WORD_1
	v_fma_f16 v36, v36, -0.5, v38
	v_fma_f16 v24, v39, v40, v24
	v_mul_f16_sdwa v27, v39, v40 dst_sel:DWORD dst_unused:UNUSED_PAD src0_sel:DWORD src1_sel:WORD_1
	v_fma_f16 v39, v37, s5, v36
	v_fma_f16 v36, v37, s6, v36
	;; [unrolled: 1-line block ×6, first 2 shown]
	v_sub_f16_e32 v35, v14, v15
	v_sub_f16_e32 v36, v24, v17
	v_fma_f16 v27, v41, v40, -v27
	v_add_f16_e32 v35, v35, v36
	v_add_f16_e32 v36, v15, v17
	v_fma_f16 v39, v36, -0.5, v43
	v_sub_f16_e32 v40, v16, v27
	v_fma_f16 v36, v40, s6, v39
	v_sub_f16_e32 v41, v20, v22
	v_fma_f16 v39, v40, s5, v39
	v_fma_f16 v36, v41, s7, v36
	;; [unrolled: 1-line block ×5, first 2 shown]
	v_sub_f16_e32 v39, v15, v14
	v_sub_f16_e32 v45, v17, v24
	v_add_f16_e32 v39, v39, v45
	v_add_f16_e32 v45, v14, v24
	v_fma_f16 v45, v45, -0.5, v43
	v_fma_f16 v46, v41, s5, v45
	v_fma_f16 v41, v41, s6, v45
	;; [unrolled: 1-line block ×6, first 2 shown]
	v_add_f16_e32 v41, v43, v14
	v_add_f16_e32 v41, v41, v15
	;; [unrolled: 1-line block ×4, first 2 shown]
	v_sub_f16_e32 v14, v14, v24
	v_sub_f16_e32 v15, v15, v17
	;; [unrolled: 1-line block ×4, first 2 shown]
	v_add_f16_e32 v17, v17, v24
	v_add_f16_e32 v24, v20, v22
	v_fma_f16 v24, v24, -0.5, v13
	v_fma_f16 v41, v14, s5, v24
	v_fma_f16 v24, v14, s6, v24
	;; [unrolled: 1-line block ×6, first 2 shown]
	v_sub_f16_e32 v17, v20, v16
	v_sub_f16_e32 v24, v22, v27
	v_add_f16_e32 v17, v17, v24
	v_add_f16_e32 v24, v16, v27
	v_fma_f16 v24, v24, -0.5, v13
	v_fma_f16 v45, v15, s6, v24
	v_fma_f16 v15, v15, s5, v24
	;; [unrolled: 1-line block ×5, first 2 shown]
	v_add_f16_e32 v14, v38, v25
	v_add_f16_e32 v14, v14, v28
	;; [unrolled: 1-line block ×4, first 2 shown]
	v_fma_f16 v46, v17, s10, v24
	v_add_f16_e32 v15, v14, v47
	v_sub_f16_e32 v17, v14, v47
	v_mul_f16_e32 v14, 0xb8b4, v43
	v_fma_f16 v14, v36, s0, v14
	v_add_f16_e32 v24, v44, v14
	v_sub_f16_e32 v38, v44, v14
	v_mul_f16_e32 v14, 0xbb9c, v46
	v_fma_f16 v14, v40, s10, v14
	v_add_f16_e32 v44, v37, v14
	v_sub_f16_e32 v37, v37, v14
	s_mov_b32 s0, 0xb4f2
	v_mul_f16_e32 v14, 0xbb9c, v45
	v_fma_f16 v14, v39, s0, v14
	v_add_f16_e32 v48, v33, v14
	v_sub_f16_e32 v33, v33, v14
	s_mov_b32 s0, 0xba79
	v_mul_f16_e32 v14, 0xb8b4, v41
	v_fma_f16 v14, v35, s0, v14
	v_add_f16_e32 v49, v31, v14
	v_sub_f16_e32 v14, v31, v14
	v_mov_b32_e32 v31, 1
	v_lshlrev_b32_sdwa v31, v31, v42 dst_sel:DWORD dst_unused:UNUSED_PAD src0_sel:DWORD src1_sel:BYTE_0
	v_add3_u32 v47, 0, v23, v31
	s_waitcnt lgkmcnt(0)
	s_barrier
	ds_write_b16 v47, v15
	ds_write_b16 v47, v24 offset:10
	ds_write_b16 v47, v44 offset:20
	;; [unrolled: 1-line block ×9, first 2 shown]
	s_waitcnt lgkmcnt(0)
	s_barrier
	ds_read_u16 v15, v29
	ds_read_u16 v38, v12 offset:1170
	ds_read_u16 v31, v12 offset:2340
	;; [unrolled: 1-line block ×6, first 2 shown]
	ds_read_u16 v23, v12
	ds_read_u16 v17, v5
	v_cmp_gt_u32_e64 s[0:1], 45, v6
                                        ; implicit-def: $vgpr24
                                        ; implicit-def: $vgpr29
	s_and_saveexec_b64 s[2:3], s[0:1]
	s_cbranch_execz .LBB0_15
; %bb.14:
	ds_read_u16 v14, v9
	ds_read_u16 v29, v10 offset:1710
	ds_read_u16 v24, v10 offset:2610
.LBB0_15:
	s_or_b64 exec, exec, s[2:3]
	v_add_f16_e32 v12, v21, v26
	v_fma_f16 v12, v12, -0.5, v18
	v_sub_f16_e32 v25, v25, v34
	v_fma_f16 v34, v25, s5, v12
	v_sub_f16_e32 v28, v28, v32
	v_fma_f16 v32, v28, s4, v34
	v_sub_f16_e32 v34, v19, v21
	v_sub_f16_e32 v48, v30, v26
	v_fma_f16 v12, v25, s6, v12
	v_add_f16_e32 v34, v34, v48
	v_fma_f16 v12, v28, s7, v12
	v_fma_f16 v32, v34, s10, v32
	;; [unrolled: 1-line block ×3, first 2 shown]
	v_add_f16_e32 v34, v19, v30
	v_add_f16_e32 v3, v18, v19
	v_fma_f16 v18, v34, -0.5, v18
	v_add_f16_e32 v3, v3, v21
	v_fma_f16 v34, v28, s6, v18
	v_sub_f16_e32 v19, v21, v19
	v_sub_f16_e32 v21, v26, v30
	v_fma_f16 v18, v28, s5, v18
	v_add_f16_e32 v13, v13, v16
	v_fma_f16 v34, v25, s4, v34
	v_add_f16_e32 v19, v19, v21
	;; [unrolled: 2-line block ×3, first 2 shown]
	v_add_f16_e32 v3, v3, v26
	v_fma_f16 v21, v19, s10, v34
	v_fma_f16 v18, v19, s10, v18
	v_add_f16_e32 v13, v13, v22
	v_mul_f16_e32 v19, 0x3a79, v43
	v_mul_f16_e32 v26, 0x34f2, v45
	v_add_f16_e32 v3, v3, v30
	v_add_f16_e32 v13, v13, v27
	v_fma_f16 v19, v36, s4, v19
	v_mul_f16_e32 v22, 0x34f2, v46
	v_fma_f16 v26, v39, s5, -v26
	v_mul_f16_e32 v28, 0x3a79, v41
	v_add_f16_e32 v16, v3, v13
	v_add_f16_e32 v20, v32, v19
	v_fma_f16 v22, v40, s5, v22
	v_add_f16_e32 v27, v18, v26
	v_fma_f16 v28, v35, s4, -v28
	v_sub_f16_e32 v13, v3, v13
	v_sub_f16_e32 v18, v18, v26
	v_add_f16_e32 v25, v21, v22
	v_add_f16_e32 v30, v12, v28
	v_sub_f16_e32 v19, v32, v19
	v_sub_f16_e32 v21, v21, v22
	;; [unrolled: 1-line block ×3, first 2 shown]
	s_waitcnt lgkmcnt(0)
	s_barrier
	ds_write_b16 v47, v16
	ds_write_b16 v47, v20 offset:10
	ds_write_b16 v47, v25 offset:20
	;; [unrolled: 1-line block ×9, first 2 shown]
	s_waitcnt lgkmcnt(0)
	s_barrier
	v_add_u32_e32 v11, v2, v11
	ds_read_u16 v20, v10 offset:900
	ds_read_u16 v26, v10 offset:1170
	;; [unrolled: 1-line block ×5, first 2 shown]
	ds_read_u16 v18, v10
	ds_read_u16 v16, v11
	;; [unrolled: 1-line block ×3, first 2 shown]
	ds_read_u16 v36, v10 offset:2340
                                        ; implicit-def: $vgpr34
                                        ; implicit-def: $vgpr35
	s_and_saveexec_b64 s[2:3], s[0:1]
	s_cbranch_execz .LBB0_17
; %bb.16:
	ds_read_u16 v3, v9
	ds_read_u16 v35, v10 offset:1710
	ds_read_u16 v34, v10 offset:2610
.LBB0_17:
	s_or_b64 exec, exec, s[2:3]
	v_mov_b32_e32 v19, 41
	v_mul_lo_u16_sdwa v19, v6, v19 dst_sel:DWORD dst_unused:UNUSED_PAD src0_sel:BYTE_0 src1_sel:DWORD
	v_lshrrev_b16_e32 v39, 11, v19
	v_mul_lo_u16_e32 v19, 50, v39
	v_sub_u16_e32 v19, v6, v19
	v_mov_b32_e32 v21, 1
	v_lshlrev_b32_sdwa v45, v21, v19 dst_sel:DWORD dst_unused:UNUSED_PAD src0_sel:DWORD src1_sel:BYTE_0
	v_mov_b32_e32 v21, 3
	v_lshlrev_b32_sdwa v19, v21, v19 dst_sel:DWORD dst_unused:UNUSED_PAD src0_sel:DWORD src1_sel:BYTE_0
	global_load_dwordx2 v[27:28], v19, s[8:9] offset:180
	s_mov_b32 s2, 0xbaee
	s_movk_i32 s3, 0x3aee
	v_mul_u32_u24_e32 v39, 0x12c, v39
	v_add3_u32 v45, 0, v39, v45
	s_waitcnt vmcnt(0)
	v_mul_f16_sdwa v21, v44, v27 dst_sel:DWORD dst_unused:UNUSED_PAD src0_sel:DWORD src1_sel:WORD_1
	v_mul_f16_sdwa v25, v42, v28 dst_sel:DWORD dst_unused:UNUSED_PAD src0_sel:DWORD src1_sel:WORD_1
	s_waitcnt lgkmcnt(8)
	v_mul_f16_sdwa v19, v20, v27 dst_sel:DWORD dst_unused:UNUSED_PAD src0_sel:DWORD src1_sel:WORD_1
	v_fma_f16 v20, v20, v27, -v21
	s_waitcnt lgkmcnt(5)
	v_mul_f16_sdwa v21, v22, v28 dst_sel:DWORD dst_unused:UNUSED_PAD src0_sel:DWORD src1_sel:WORD_1
	v_fma_f16 v22, v22, v28, -v25
	v_lshrrev_b16_e32 v25, 1, v8
	v_mul_u32_u24_e32 v25, 0x147b, v25
	v_fma_f16 v19, v44, v27, v19
	v_lshrrev_b32_e32 v44, 17, v25
	v_mul_lo_u16_e32 v25, 50, v44
	v_sub_u16_e32 v25, v8, v25
	v_lshlrev_b32_e32 v46, 1, v25
	v_lshlrev_b32_e32 v25, 3, v25
	v_fma_f16 v21, v42, v28, v21
	global_load_dwordx2 v[27:28], v25, s[8:9] offset:180
	s_waitcnt vmcnt(0)
	v_mul_f16_sdwa v25, v26, v27 dst_sel:DWORD dst_unused:UNUSED_PAD src0_sel:DWORD src1_sel:WORD_1
	v_mul_f16_sdwa v30, v38, v27 dst_sel:DWORD dst_unused:UNUSED_PAD src0_sel:DWORD src1_sel:WORD_1
	v_fma_f16 v25, v38, v27, v25
	v_fma_f16 v26, v26, v27, -v30
	v_mul_f16_sdwa v27, v12, v28 dst_sel:DWORD dst_unused:UNUSED_PAD src0_sel:DWORD src1_sel:WORD_1
	v_mul_f16_sdwa v30, v37, v28 dst_sel:DWORD dst_unused:UNUSED_PAD src0_sel:DWORD src1_sel:WORD_1
	v_fma_f16 v27, v37, v28, v27
	v_fma_f16 v28, v12, v28, -v30
	v_lshrrev_b16_e32 v12, 1, v4
	v_mul_u32_u24_e32 v30, 0x147b, v12
	v_lshrrev_b32_e32 v47, 17, v30
	v_mul_lo_u16_e32 v30, 50, v47
	v_sub_u16_e32 v30, v4, v30
	v_lshlrev_b32_e32 v48, 1, v30
	v_lshlrev_b32_e32 v30, 3, v30
	global_load_dwordx2 v[37:38], v30, s[8:9] offset:180
	s_waitcnt vmcnt(0)
	v_mul_f16_sdwa v32, v33, v37 dst_sel:DWORD dst_unused:UNUSED_PAD src0_sel:DWORD src1_sel:WORD_1
	s_waitcnt lgkmcnt(4)
	v_mul_f16_sdwa v30, v13, v37 dst_sel:DWORD dst_unused:UNUSED_PAD src0_sel:DWORD src1_sel:WORD_1
	v_fma_f16 v32, v13, v37, -v32
	s_waitcnt lgkmcnt(0)
	v_mul_f16_sdwa v13, v36, v38 dst_sel:DWORD dst_unused:UNUSED_PAD src0_sel:DWORD src1_sel:WORD_1
	v_fma_f16 v30, v33, v37, v30
	v_fma_f16 v33, v31, v38, v13
	v_mul_f16_sdwa v13, v31, v38 dst_sel:DWORD dst_unused:UNUSED_PAD src0_sel:DWORD src1_sel:WORD_1
	v_fma_f16 v37, v36, v38, -v13
	v_lshrrev_b16_e32 v13, 1, v7
	v_mul_u32_u24_e32 v31, 0x147b, v13
	v_lshrrev_b32_e32 v31, 17, v31
	v_mul_lo_u16_e32 v31, 50, v31
	v_sub_u16_e32 v31, v7, v31
	v_lshlrev_b32_e32 v36, 3, v31
	global_load_dwordx2 v[41:42], v36, s[8:9] offset:180
	s_waitcnt vmcnt(0)
	s_barrier
	v_mul_f16_sdwa v36, v35, v41 dst_sel:DWORD dst_unused:UNUSED_PAD src0_sel:DWORD src1_sel:WORD_1
	v_fma_f16 v38, v29, v41, v36
	v_mul_f16_sdwa v29, v29, v41 dst_sel:DWORD dst_unused:UNUSED_PAD src0_sel:DWORD src1_sel:WORD_1
	v_fma_f16 v40, v35, v41, -v29
	v_mul_f16_sdwa v29, v34, v42 dst_sel:DWORD dst_unused:UNUSED_PAD src0_sel:DWORD src1_sel:WORD_1
	v_fma_f16 v41, v24, v42, v29
	v_mul_f16_sdwa v24, v24, v42 dst_sel:DWORD dst_unused:UNUSED_PAD src0_sel:DWORD src1_sel:WORD_1
	v_add_f16_e32 v29, v19, v21
	v_fma_f16 v43, v34, v42, -v24
	v_add_f16_e32 v24, v23, v19
	v_fma_f16 v23, v29, -0.5, v23
	v_sub_f16_e32 v29, v20, v22
	v_add_f16_e32 v35, v25, v27
	v_fma_f16 v34, v29, s2, v23
	v_fma_f16 v23, v29, s3, v23
	v_add_f16_e32 v29, v15, v25
	v_fma_f16 v15, v35, -0.5, v15
	v_sub_f16_e32 v35, v26, v28
	v_fma_f16 v36, v35, s2, v15
	v_fma_f16 v35, v35, s3, v15
	v_add_f16_e32 v15, v17, v30
	v_add_f16_e32 v42, v15, v33
	;; [unrolled: 1-line block ×4, first 2 shown]
	v_fma_f16 v15, v15, -0.5, v17
	v_sub_f16_e32 v17, v32, v37
	v_fma_f16 v49, v17, s2, v15
	v_fma_f16 v50, v17, s3, v15
	v_add_f16_e32 v17, v38, v41
	ds_write_b16 v45, v24
	ds_write_b16 v45, v34 offset:100
	ds_write_b16 v45, v23 offset:200
	v_mul_u32_u24_e32 v23, 0x12c, v44
	v_add_f16_e32 v15, v14, v38
	v_fma_f16 v14, v17, -0.5, v14
	v_sub_f16_e32 v51, v40, v43
	v_add3_u32 v46, 0, v23, v46
	v_mul_u32_u24_e32 v23, 0x12c, v47
	v_add_f16_e32 v29, v29, v27
	v_add_f16_e32 v15, v15, v41
	v_fma_f16 v17, v51, s2, v14
	v_fma_f16 v14, v51, s3, v14
	v_add3_u32 v47, 0, v23, v48
	v_lshl_add_u32 v44, v31, 1, 0
	ds_write_b16 v46, v29
	ds_write_b16 v46, v36 offset:100
	ds_write_b16 v46, v35 offset:200
	ds_write_b16 v47, v42
	ds_write_b16 v47, v49 offset:100
	ds_write_b16 v47, v50 offset:200
	s_and_saveexec_b64 s[2:3], s[0:1]
	s_cbranch_execz .LBB0_19
; %bb.18:
	ds_write_b16 v44, v15 offset:2400
	ds_write_b16 v44, v17 offset:2500
	;; [unrolled: 1-line block ×3, first 2 shown]
.LBB0_19:
	s_or_b64 exec, exec, s[2:3]
	s_waitcnt lgkmcnt(0)
	s_barrier
	ds_read_u16 v39, v10 offset:900
	ds_read_u16 v34, v10 offset:1170
	;; [unrolled: 1-line block ×5, first 2 shown]
	ds_read_u16 v29, v10
	ds_read_u16 v24, v11
	;; [unrolled: 1-line block ×3, first 2 shown]
	ds_read_u16 v36, v10 offset:2340
	s_and_saveexec_b64 s[2:3], s[0:1]
	s_cbranch_execz .LBB0_21
; %bb.20:
	ds_read_u16 v15, v9
	ds_read_u16 v17, v10 offset:1710
	ds_read_u16 v14, v10 offset:2610
.LBB0_21:
	s_or_b64 exec, exec, s[2:3]
	v_add_f16_e32 v48, v18, v20
	v_add_f16_e32 v20, v20, v22
	v_fma_f16 v18, v20, -0.5, v18
	v_sub_f16_e32 v19, v19, v21
	s_movk_i32 s2, 0x3aee
	s_mov_b32 s3, 0xbaee
	v_fma_f16 v20, v19, s2, v18
	v_fma_f16 v21, v19, s3, v18
	v_add_f16_e32 v18, v16, v26
	v_add_f16_e32 v48, v48, v22
	v_add_f16_e32 v22, v18, v28
	v_add_f16_e32 v18, v26, v28
	v_fma_f16 v16, v18, -0.5, v16
	v_sub_f16_e32 v18, v25, v27
	v_fma_f16 v25, v18, s2, v16
	v_fma_f16 v26, v18, s3, v16
	v_add_f16_e32 v16, v2, v32
	v_add_f16_e32 v27, v16, v37
	v_add_f16_e32 v16, v32, v37
	v_fma_f16 v2, v16, -0.5, v2
	v_sub_f16_e32 v16, v30, v33
	v_add_f16_e32 v18, v40, v43
	v_fma_f16 v28, v16, s2, v2
	v_fma_f16 v2, v16, s3, v2
	v_add_f16_e32 v16, v3, v40
	v_fma_f16 v3, v18, -0.5, v3
	v_sub_f16_e32 v18, v38, v41
	v_add_f16_e32 v16, v16, v43
	v_fma_f16 v19, v18, s2, v3
	v_fma_f16 v18, v18, s3, v3
	s_waitcnt lgkmcnt(0)
	s_barrier
	ds_write_b16 v45, v48
	ds_write_b16 v45, v20 offset:100
	ds_write_b16 v45, v21 offset:200
	ds_write_b16 v46, v22
	ds_write_b16 v46, v25 offset:100
	ds_write_b16 v46, v26 offset:200
	;; [unrolled: 3-line block ×3, first 2 shown]
	s_and_saveexec_b64 s[2:3], s[0:1]
	s_cbranch_execz .LBB0_23
; %bb.22:
	ds_write_b16 v44, v16 offset:2400
	ds_write_b16 v44, v19 offset:2500
	;; [unrolled: 1-line block ×3, first 2 shown]
.LBB0_23:
	s_or_b64 exec, exec, s[2:3]
	s_waitcnt lgkmcnt(0)
	s_barrier
	ds_read_u16 v32, v10 offset:900
	ds_read_u16 v25, v10 offset:1170
	;; [unrolled: 1-line block ×5, first 2 shown]
	ds_read_u16 v27, v10
	ds_read_u16 v22, v11
	;; [unrolled: 1-line block ×3, first 2 shown]
	ds_read_u16 v28, v10 offset:2340
	s_and_saveexec_b64 s[2:3], s[0:1]
	s_cbranch_execz .LBB0_25
; %bb.24:
	ds_read_u16 v16, v9
	ds_read_u16 v19, v10 offset:1710
	ds_read_u16 v18, v10 offset:2610
.LBB0_25:
	s_or_b64 exec, exec, s[2:3]
	v_lshlrev_b32_e32 v45, 1, v6
	v_mov_b32_e32 v46, 0
	v_lshlrev_b64 v[2:3], 2, v[45:46]
	v_mov_b32_e32 v30, s9
	v_add_co_u32_e64 v2, s[2:3], s8, v2
	v_addc_co_u32_e64 v3, s[2:3], v30, v3, s[2:3]
	v_add_u32_e32 v33, -15, v6
	v_cmp_gt_u32_e64 s[2:3], 15, v6
	v_cndmask_b32_e64 v33, v33, v8, s[2:3]
	v_lshlrev_b32_e32 v45, 1, v33
	v_lshlrev_b64 v[43:44], 2, v[45:46]
	v_mul_u32_u24_e32 v12, 0xda75, v12
	v_mul_u32_u24_e32 v13, 0xda75, v13
	v_lshrrev_b32_e32 v48, 22, v12
	v_lshrrev_b32_e32 v33, 22, v13
	v_add_co_u32_e64 v43, s[2:3], s8, v43
	v_mul_lo_u16_e32 v12, 0x96, v48
	v_mul_lo_u16_e32 v33, 0x96, v33
	global_load_dwordx2 v[40:41], v[2:3], off offset:580
	v_addc_co_u32_e64 v44, s[2:3], v30, v44, s[2:3]
	global_load_dwordx2 v[43:44], v[43:44], off offset:580
	v_sub_u16_e32 v30, v4, v12
	v_sub_u16_e32 v49, v7, v33
	v_lshlrev_b32_e32 v12, 3, v30
	v_lshlrev_b32_e32 v33, 3, v49
	global_load_dwordx2 v[12:13], v12, s[8:9] offset:580
	v_lshlrev_b32_e32 v50, 1, v30
	global_load_dwordx2 v[46:47], v33, s[8:9] offset:580
	s_mov_b32 s2, 0xbaee
	s_movk_i32 s3, 0x3aee
	s_waitcnt vmcnt(0) lgkmcnt(0)
	s_barrier
	v_mul_f16_sdwa v33, v39, v40 dst_sel:DWORD dst_unused:UNUSED_PAD src0_sel:DWORD src1_sel:WORD_1
	v_mul_f16_sdwa v38, v37, v41 dst_sel:DWORD dst_unused:UNUSED_PAD src0_sel:DWORD src1_sel:WORD_1
	;; [unrolled: 1-line block ×4, first 2 shown]
	v_fma_f16 v33, v32, v40, -v33
	v_fma_f16 v32, v42, v41, v38
	v_fma_f16 v37, v37, v41, -v51
	v_mul_f16_sdwa v38, v25, v43 dst_sel:DWORD dst_unused:UNUSED_PAD src0_sel:DWORD src1_sel:WORD_1
	v_mul_f16_sdwa v41, v21, v44 dst_sel:DWORD dst_unused:UNUSED_PAD src0_sel:DWORD src1_sel:WORD_1
	v_fma_f16 v30, v39, v40, v30
	v_mul_f16_sdwa v40, v34, v43 dst_sel:DWORD dst_unused:UNUSED_PAD src0_sel:DWORD src1_sel:WORD_1
	v_mul_f16_sdwa v42, v31, v44 dst_sel:DWORD dst_unused:UNUSED_PAD src0_sel:DWORD src1_sel:WORD_1
	;; [unrolled: 1-line block ×7, first 2 shown]
	v_fma_f16 v39, v34, v43, v38
	v_fma_f16 v41, v31, v44, v41
	v_mul_f16_sdwa v52, v35, v12 dst_sel:DWORD dst_unused:UNUSED_PAD src0_sel:DWORD src1_sel:WORD_1
	v_mul_f16_sdwa v56, v17, v46 dst_sel:DWORD dst_unused:UNUSED_PAD src0_sel:DWORD src1_sel:WORD_1
	v_mul_f16_sdwa v58, v14, v47 dst_sel:DWORD dst_unused:UNUSED_PAD src0_sel:DWORD src1_sel:WORD_1
	v_add_f16_e32 v60, v30, v32
	v_fma_f16 v43, v25, v43, -v40
	v_fma_f16 v44, v21, v44, -v42
	v_fma_f16 v34, v35, v12, v51
	v_fma_f16 v36, v36, v13, v53
	v_fma_f16 v42, v28, v13, -v54
	v_fma_f16 v17, v17, v46, v55
	v_fma_f16 v31, v14, v47, v57
	v_add_f16_e32 v13, v39, v41
	v_sub_f16_e32 v61, v33, v37
	v_fma_f16 v40, v26, v12, -v52
	v_fma_f16 v35, v19, v46, -v56
	;; [unrolled: 1-line block ×3, first 2 shown]
	v_fma_f16 v12, v60, -0.5, v29
	v_sub_f16_e32 v14, v43, v44
	v_add_f16_e32 v25, v23, v34
	v_add_f16_e32 v26, v34, v36
	;; [unrolled: 1-line block ×3, first 2 shown]
	v_fma_f16 v13, v13, -0.5, v24
	v_add_f16_e32 v59, v29, v30
	v_fma_f16 v19, v61, s2, v12
	v_fma_f16 v21, v61, s3, v12
	v_add_f16_e32 v12, v24, v39
	v_sub_f16_e32 v28, v40, v42
	v_add_f16_e32 v29, v15, v17
	v_add_f16_e32 v24, v25, v36
	v_fma_f16 v23, v26, -0.5, v23
	v_fma_f16 v15, v46, -0.5, v15
	v_fma_f16 v25, v14, s2, v13
	v_fma_f16 v26, v14, s3, v13
	v_sub_f16_e32 v13, v35, v38
	v_add_f16_e32 v47, v12, v41
	v_add_f16_e32 v12, v29, v31
	v_fma_f16 v29, v28, s2, v23
	v_fma_f16 v23, v28, s3, v23
	;; [unrolled: 1-line block ×4, first 2 shown]
	v_mov_b32_e32 v15, 0x384
	v_cmp_lt_u32_e64 s[2:3], 14, v6
	v_cndmask_b32_e64 v15, 0, v15, s[2:3]
	v_add_f16_e32 v18, v59, v32
	v_add3_u32 v46, 0, v15, v45
	v_mul_u32_u24_e32 v15, 0x384, v48
	ds_write_b16 v10, v18
	ds_write_b16 v10, v19 offset:300
	ds_write_b16 v10, v21 offset:600
	ds_write_b16 v46, v47
	ds_write_b16 v46, v25 offset:300
	ds_write_b16 v46, v26 offset:600
	v_add3_u32 v47, 0, v15, v50
	v_lshl_add_u32 v45, v49, 1, 0
	ds_write_b16 v47, v24
	ds_write_b16 v47, v29 offset:300
	ds_write_b16 v47, v23 offset:600
	s_and_saveexec_b64 s[2:3], s[0:1]
	s_cbranch_execz .LBB0_27
; %bb.26:
	ds_write_b16 v45, v12 offset:1800
	ds_write_b16 v45, v14 offset:2100
	;; [unrolled: 1-line block ×3, first 2 shown]
.LBB0_27:
	s_or_b64 exec, exec, s[2:3]
	s_waitcnt lgkmcnt(0)
	s_barrier
	ds_read_u16 v21, v10 offset:900
	ds_read_u16 v25, v10 offset:1170
	;; [unrolled: 1-line block ×5, first 2 shown]
	ds_read_u16 v18, v10
	ds_read_u16 v19, v11
	ds_read_u16 v24, v5
	ds_read_u16 v29, v10 offset:2340
	s_and_saveexec_b64 s[2:3], s[0:1]
	s_cbranch_execz .LBB0_29
; %bb.28:
	ds_read_u16 v12, v9
	ds_read_u16 v14, v10 offset:1710
	ds_read_u16 v13, v10 offset:2610
.LBB0_29:
	s_or_b64 exec, exec, s[2:3]
	v_add_f16_e32 v15, v27, v33
	v_add_f16_e32 v48, v15, v37
	;; [unrolled: 1-line block ×3, first 2 shown]
	v_fma_f16 v15, v15, -0.5, v27
	v_sub_f16_e32 v27, v30, v32
	s_movk_i32 s2, 0x3aee
	s_mov_b32 s3, 0xbaee
	v_fma_f16 v30, v27, s2, v15
	v_fma_f16 v27, v27, s3, v15
	v_add_f16_e32 v15, v22, v43
	v_add_f16_e32 v32, v15, v44
	;; [unrolled: 1-line block ×3, first 2 shown]
	v_fma_f16 v15, v15, -0.5, v22
	v_sub_f16_e32 v22, v39, v41
	v_fma_f16 v33, v22, s2, v15
	v_fma_f16 v22, v22, s3, v15
	v_add_f16_e32 v15, v20, v40
	v_add_f16_e32 v37, v15, v42
	;; [unrolled: 1-line block ×3, first 2 shown]
	v_fma_f16 v15, v15, -0.5, v20
	v_sub_f16_e32 v20, v34, v36
	v_fma_f16 v34, v20, s2, v15
	v_fma_f16 v20, v20, s3, v15
	v_add_f16_e32 v15, v16, v35
	v_add_f16_e32 v35, v35, v38
	v_fma_f16 v16, v35, -0.5, v16
	v_sub_f16_e32 v31, v17, v31
	v_add_f16_e32 v15, v15, v38
	v_fma_f16 v17, v31, s2, v16
	v_fma_f16 v16, v31, s3, v16
	s_waitcnt lgkmcnt(0)
	s_barrier
	ds_write_b16 v10, v48
	ds_write_b16 v10, v30 offset:300
	ds_write_b16 v10, v27 offset:600
	ds_write_b16 v46, v32
	ds_write_b16 v46, v33 offset:300
	ds_write_b16 v46, v22 offset:600
	;; [unrolled: 3-line block ×3, first 2 shown]
	s_and_saveexec_b64 s[2:3], s[0:1]
	s_cbranch_execz .LBB0_31
; %bb.30:
	ds_write_b16 v45, v15 offset:1800
	ds_write_b16 v45, v17 offset:2100
	;; [unrolled: 1-line block ×3, first 2 shown]
.LBB0_31:
	s_or_b64 exec, exec, s[2:3]
	s_waitcnt lgkmcnt(0)
	s_barrier
	ds_read_u16 v22, v10 offset:900
	ds_read_u16 v31, v10 offset:1170
	;; [unrolled: 1-line block ×5, first 2 shown]
	ds_read_u16 v20, v10
	ds_read_u16 v11, v11
	;; [unrolled: 1-line block ×3, first 2 shown]
	ds_read_u16 v34, v10 offset:2340
	s_and_saveexec_b64 s[2:3], s[0:1]
	s_cbranch_execz .LBB0_33
; %bb.32:
	ds_read_u16 v15, v9
	ds_read_u16 v17, v10 offset:1710
	ds_read_u16 v16, v10 offset:2610
.LBB0_33:
	s_or_b64 exec, exec, s[2:3]
	s_and_saveexec_b64 s[2:3], vcc
	s_cbranch_execz .LBB0_36
; %bb.34:
	v_lshlrev_b32_e32 v4, 1, v4
	v_mov_b32_e32 v5, 0
	v_lshlrev_b64 v[9:10], 2, v[4:5]
	v_lshlrev_b32_e32 v4, 1, v8
	v_mov_b32_e32 v37, s9
	v_add_co_u32_e32 v9, vcc, s8, v9
	v_lshlrev_b64 v[35:36], 2, v[4:5]
	v_addc_co_u32_e32 v10, vcc, v37, v10, vcc
	global_load_dwordx2 v[9:10], v[9:10], off offset:1780
	v_add_co_u32_e32 v35, vcc, s8, v35
	v_addc_co_u32_e32 v36, vcc, v37, v36, vcc
	global_load_dwordx2 v[37:38], v[35:36], off offset:1780
	global_load_dwordx2 v[39:40], v[2:3], off offset:1780
	v_mad_u64_u32 v[2:3], s[2:3], s12, v6, 0
	s_mov_b32 s2, 0xbaee
	s_movk_i32 s3, 0x3aee
	v_mad_u64_u32 v[3:4], s[4:5], s13, v6, v[3:4]
	v_add_co_u32_e32 v0, vcc, s14, v0
	v_lshlrev_b64 v[2:3], 2, v[2:3]
	s_mov_b32 s6, 0x91a2b3c5
	s_movk_i32 s7, 0x384
	s_waitcnt vmcnt(2)
	v_mul_f16_sdwa v4, v28, v9 dst_sel:DWORD dst_unused:UNUSED_PAD src0_sel:DWORD src1_sel:WORD_1
	v_mul_f16_sdwa v8, v29, v10 dst_sel:DWORD dst_unused:UNUSED_PAD src0_sel:DWORD src1_sel:WORD_1
	s_waitcnt lgkmcnt(4)
	v_mul_f16_sdwa v35, v33, v9 dst_sel:DWORD dst_unused:UNUSED_PAD src0_sel:DWORD src1_sel:WORD_1
	s_waitcnt lgkmcnt(0)
	v_mul_f16_sdwa v36, v34, v10 dst_sel:DWORD dst_unused:UNUSED_PAD src0_sel:DWORD src1_sel:WORD_1
	v_fma_f16 v4, v33, v9, -v4
	v_fma_f16 v8, v34, v10, -v8
	v_fma_f16 v9, v28, v9, v35
	v_fma_f16 v10, v29, v10, v36
	s_waitcnt vmcnt(1)
	v_mul_f16_sdwa v28, v25, v37 dst_sel:DWORD dst_unused:UNUSED_PAD src0_sel:DWORD src1_sel:WORD_1
	v_mul_f16_sdwa v29, v26, v38 dst_sel:DWORD dst_unused:UNUSED_PAD src0_sel:DWORD src1_sel:WORD_1
	;; [unrolled: 1-line block ×4, first 2 shown]
	s_waitcnt vmcnt(0)
	v_mul_f16_sdwa v35, v21, v39 dst_sel:DWORD dst_unused:UNUSED_PAD src0_sel:DWORD src1_sel:WORD_1
	v_mul_f16_sdwa v36, v23, v40 dst_sel:DWORD dst_unused:UNUSED_PAD src0_sel:DWORD src1_sel:WORD_1
	;; [unrolled: 1-line block ×4, first 2 shown]
	v_sub_f16_e32 v44, v9, v10
	v_add_f16_e32 v45, v30, v4
	v_add_f16_e32 v46, v9, v10
	;; [unrolled: 1-line block ×3, first 2 shown]
	v_fma_f16 v28, v31, v37, -v28
	v_fma_f16 v29, v32, v38, -v29
	v_add_f16_e32 v43, v4, v8
	v_sub_f16_e32 v4, v4, v8
	v_fma_f16 v25, v25, v37, v33
	v_fma_f16 v26, v26, v38, v34
	v_fma_f16 v22, v22, v39, -v35
	v_fma_f16 v27, v27, v40, -v36
	v_fma_f16 v21, v21, v39, v41
	v_fma_f16 v23, v23, v40, v42
	v_add_f16_e32 v31, v45, v8
	v_fma_f16 v8, v46, -0.5, v24
	v_add_f16_e32 v24, v9, v10
	v_add_f16_e32 v9, v28, v29
	v_sub_f16_e32 v10, v25, v26
	v_add_f16_e32 v33, v25, v26
	v_add_f16_e32 v34, v22, v27
	v_sub_f16_e32 v35, v21, v23
	v_add_f16_e32 v37, v21, v23
	v_add_f16_e32 v21, v18, v21
	v_fma_f16 v39, v4, s3, v8
	v_fma_f16 v40, v4, s2, v8
	v_fma_f16 v4, v9, -0.5, v11
	v_add_f16_e32 v32, v11, v28
	v_sub_f16_e32 v28, v28, v29
	v_add_f16_e32 v25, v19, v25
	v_add_f16_e32 v36, v20, v22
	v_fma_f16 v8, v33, -0.5, v19
	v_fma_f16 v9, v34, -0.5, v20
	v_add_f16_e32 v20, v21, v23
	v_fma_f16 v21, v10, s2, v4
	v_fma_f16 v23, v10, s3, v4
	v_add_u32_e32 v10, 0x1c2, v6
	v_sub_f16_e32 v22, v22, v27
	v_add_f16_e32 v19, v25, v26
	v_add_f16_e32 v11, v36, v27
	v_fma_f16 v25, v28, s3, v8
	v_fma_f16 v26, v28, s2, v8
	;; [unrolled: 1-line block ×4, first 2 shown]
	v_mad_u64_u32 v[8:9], s[4:5], s12, v10, 0
	v_mov_b32_e32 v4, s15
	v_addc_co_u32_e32 v1, vcc, v4, v1, vcc
	v_mov_b32_e32 v4, v9
	v_mad_u64_u32 v[9:10], s[4:5], s13, v10, v[4:5]
	v_add_co_u32_e32 v2, vcc, v0, v2
	v_addc_co_u32_e32 v3, vcc, v1, v3, vcc
	v_pack_b32_f16 v4, v20, v11
	global_store_dword v[2:3], v4, off
	v_add_u32_e32 v4, 0x384, v6
	v_lshlrev_b64 v[2:3], 2, v[8:9]
	v_mad_u64_u32 v[8:9], s[4:5], s12, v4, 0
	v_fma_f16 v18, v37, -0.5, v18
	v_add_f16_e32 v29, v32, v29
	v_fma_f16 v32, v22, s3, v18
	v_fma_f16 v18, v22, s2, v18
	v_add_co_u32_e32 v2, vcc, v0, v2
	v_addc_co_u32_e32 v3, vcc, v1, v3, vcc
	v_pack_b32_f16 v10, v18, v28
	global_store_dword v[2:3], v10, off
	v_mov_b32_e32 v2, v9
	v_mad_u64_u32 v[2:3], s[4:5], s13, v4, v[2:3]
	v_add_u32_e32 v4, 0x87, v6
	v_mul_hi_u32 v10, v4, s6
	v_mov_b32_e32 v9, v2
	v_lshlrev_b64 v[2:3], 2, v[8:9]
	v_pack_b32_f16 v20, v32, v27
	v_lshrrev_b32_e32 v8, 8, v10
	v_mad_u32_u24 v18, v8, s7, v4
	v_mad_u64_u32 v[8:9], s[4:5], s12, v18, 0
	v_add_u32_e32 v22, 0x1c2, v18
	v_add_co_u32_e32 v2, vcc, v0, v2
	v_mov_b32_e32 v4, v9
	v_mad_u64_u32 v[9:10], s[4:5], s13, v18, v[4:5]
	v_mad_u64_u32 v[10:11], s[4:5], s12, v22, 0
	v_addc_co_u32_e32 v3, vcc, v1, v3, vcc
	v_mov_b32_e32 v4, v11
	global_store_dword v[2:3], v20, off
	v_lshlrev_b64 v[2:3], 2, v[8:9]
	v_mad_u64_u32 v[8:9], s[4:5], s13, v22, v[4:5]
	v_add_co_u32_e32 v2, vcc, v0, v2
	v_addc_co_u32_e32 v3, vcc, v1, v3, vcc
	v_pack_b32_f16 v4, v19, v29
	v_mov_b32_e32 v11, v8
	global_store_dword v[2:3], v4, off
	v_lshlrev_b64 v[2:3], 2, v[10:11]
	v_add_u32_e32 v10, 0x384, v18
	v_mad_u64_u32 v[8:9], s[4:5], s12, v10, 0
	v_add_u32_e32 v11, 0x10e, v6
	v_mul_hi_u32 v19, v11, s6
	v_mov_b32_e32 v4, v9
	v_mad_u64_u32 v[9:10], s[4:5], s13, v10, v[4:5]
	v_lshrrev_b32_e32 v4, 8, v19
	v_mad_u32_u24 v19, v4, s7, v11
	v_mad_u64_u32 v[10:11], s[4:5], s12, v19, 0
	v_add_co_u32_e32 v2, vcc, v0, v2
	v_addc_co_u32_e32 v3, vcc, v1, v3, vcc
	v_pack_b32_f16 v18, v26, v23
	v_mov_b32_e32 v4, v11
	global_store_dword v[2:3], v18, off
	v_lshlrev_b64 v[2:3], 2, v[8:9]
	v_mad_u64_u32 v[8:9], s[4:5], s13, v19, v[4:5]
	v_add_co_u32_e32 v2, vcc, v0, v2
	v_addc_co_u32_e32 v3, vcc, v1, v3, vcc
	v_pack_b32_f16 v4, v25, v21
	v_mov_b32_e32 v11, v8
	global_store_dword v[2:3], v4, off
	v_lshlrev_b64 v[2:3], 2, v[10:11]
	v_add_u32_e32 v10, 0x1c2, v19
	v_mad_u64_u32 v[8:9], s[4:5], s12, v10, 0
	v_add_u32_e32 v19, 0x384, v19
	v_add_co_u32_e32 v2, vcc, v0, v2
	v_mov_b32_e32 v4, v9
	v_mad_u64_u32 v[9:10], s[4:5], s13, v10, v[4:5]
	v_mad_u64_u32 v[10:11], s[4:5], s12, v19, 0
	v_addc_co_u32_e32 v3, vcc, v1, v3, vcc
	v_pack_b32_f16 v18, v24, v31
	v_mov_b32_e32 v4, v11
	global_store_dword v[2:3], v18, off
	v_lshlrev_b64 v[2:3], 2, v[8:9]
	v_mad_u64_u32 v[8:9], s[4:5], s13, v19, v[4:5]
	v_fma_f16 v30, v43, -0.5, v30
	v_fma_f16 v38, v44, s2, v30
	v_fma_f16 v30, v44, s3, v30
	v_add_co_u32_e32 v2, vcc, v0, v2
	v_addc_co_u32_e32 v3, vcc, v1, v3, vcc
	v_pack_b32_f16 v4, v40, v30
	v_mov_b32_e32 v11, v8
	global_store_dword v[2:3], v4, off
	v_lshlrev_b64 v[2:3], 2, v[10:11]
	v_pack_b32_f16 v4, v39, v38
	v_add_co_u32_e32 v2, vcc, v0, v2
	v_addc_co_u32_e32 v3, vcc, v1, v3, vcc
	global_store_dword v[2:3], v4, off
	s_and_b64 exec, exec, s[0:1]
	s_cbranch_execz .LBB0_36
; %bb.35:
	v_subrev_u32_e32 v2, 45, v6
	v_cndmask_b32_e64 v2, v2, v7, s[0:1]
	v_lshlrev_b32_e32 v4, 1, v2
	v_lshlrev_b64 v[2:3], 2, v[4:5]
	v_mov_b32_e32 v4, s9
	v_add_co_u32_e32 v2, vcc, s8, v2
	v_addc_co_u32_e32 v3, vcc, v4, v3, vcc
	global_load_dwordx2 v[2:3], v[2:3], off offset:1780
	v_add_u32_e32 v10, 0x195, v6
	v_add_u32_e32 v18, 0x357, v6
	;; [unrolled: 1-line block ×3, first 2 shown]
	v_mad_u64_u32 v[4:5], s[0:1], s12, v10, 0
	v_mad_u64_u32 v[6:7], s[0:1], s12, v18, 0
	;; [unrolled: 1-line block ×6, first 2 shown]
	v_mov_b32_e32 v5, v10
	v_lshlrev_b64 v[4:5], 2, v[4:5]
	v_mov_b32_e32 v7, v18
	v_lshlrev_b64 v[6:7], 2, v[6:7]
	v_add_co_u32_e32 v4, vcc, v0, v4
	v_mov_b32_e32 v9, v19
	v_addc_co_u32_e32 v5, vcc, v1, v5, vcc
	v_lshlrev_b64 v[8:9], 2, v[8:9]
	v_add_co_u32_e32 v6, vcc, v0, v6
	v_addc_co_u32_e32 v7, vcc, v1, v7, vcc
	v_add_co_u32_e32 v0, vcc, v0, v8
	v_addc_co_u32_e32 v1, vcc, v1, v9, vcc
	s_waitcnt vmcnt(0)
	v_mul_f16_sdwa v8, v17, v2 dst_sel:DWORD dst_unused:UNUSED_PAD src0_sel:DWORD src1_sel:WORD_1
	v_mul_f16_sdwa v9, v14, v2 dst_sel:DWORD dst_unused:UNUSED_PAD src0_sel:DWORD src1_sel:WORD_1
	;; [unrolled: 1-line block ×4, first 2 shown]
	v_fma_f16 v8, v14, v2, v8
	v_fma_f16 v2, v17, v2, -v9
	v_fma_f16 v9, v13, v3, v10
	v_fma_f16 v3, v16, v3, -v11
	v_add_f16_e32 v10, v12, v8
	v_add_f16_e32 v11, v8, v9
	v_sub_f16_e32 v13, v2, v3
	v_add_f16_e32 v14, v15, v2
	v_add_f16_e32 v2, v2, v3
	v_sub_f16_e32 v8, v8, v9
	v_add_f16_e32 v9, v10, v9
	v_fma_f16 v10, v11, -0.5, v12
	v_add_f16_e32 v3, v14, v3
	v_fma_f16 v2, v2, -0.5, v15
	v_fma_f16 v11, v13, s2, v10
	v_fma_f16 v12, v8, s3, v2
	v_pack_b32_f16 v3, v9, v3
	v_fma_f16 v10, v13, s3, v10
	v_fma_f16 v2, v8, s2, v2
	global_store_dword v[4:5], v3, off
	v_pack_b32_f16 v3, v11, v12
	v_pack_b32_f16 v2, v10, v2
	global_store_dword v[6:7], v3, off
	global_store_dword v[0:1], v2, off
.LBB0_36:
	s_endpgm
	.section	.rodata,"a",@progbits
	.p2align	6, 0x0
	.amdhsa_kernel fft_rtc_back_len1350_factors_5_10_3_3_3_wgs_135_tpt_135_halfLds_half_ip_CI_sbrr_dirReg
		.amdhsa_group_segment_fixed_size 0
		.amdhsa_private_segment_fixed_size 0
		.amdhsa_kernarg_size 88
		.amdhsa_user_sgpr_count 6
		.amdhsa_user_sgpr_private_segment_buffer 1
		.amdhsa_user_sgpr_dispatch_ptr 0
		.amdhsa_user_sgpr_queue_ptr 0
		.amdhsa_user_sgpr_kernarg_segment_ptr 1
		.amdhsa_user_sgpr_dispatch_id 0
		.amdhsa_user_sgpr_flat_scratch_init 0
		.amdhsa_user_sgpr_private_segment_size 0
		.amdhsa_uses_dynamic_stack 0
		.amdhsa_system_sgpr_private_segment_wavefront_offset 0
		.amdhsa_system_sgpr_workgroup_id_x 1
		.amdhsa_system_sgpr_workgroup_id_y 0
		.amdhsa_system_sgpr_workgroup_id_z 0
		.amdhsa_system_sgpr_workgroup_info 0
		.amdhsa_system_vgpr_workitem_id 0
		.amdhsa_next_free_vgpr 62
		.amdhsa_next_free_sgpr 24
		.amdhsa_reserve_vcc 1
		.amdhsa_reserve_flat_scratch 0
		.amdhsa_float_round_mode_32 0
		.amdhsa_float_round_mode_16_64 0
		.amdhsa_float_denorm_mode_32 3
		.amdhsa_float_denorm_mode_16_64 3
		.amdhsa_dx10_clamp 1
		.amdhsa_ieee_mode 1
		.amdhsa_fp16_overflow 0
		.amdhsa_exception_fp_ieee_invalid_op 0
		.amdhsa_exception_fp_denorm_src 0
		.amdhsa_exception_fp_ieee_div_zero 0
		.amdhsa_exception_fp_ieee_overflow 0
		.amdhsa_exception_fp_ieee_underflow 0
		.amdhsa_exception_fp_ieee_inexact 0
		.amdhsa_exception_int_div_zero 0
	.end_amdhsa_kernel
	.text
.Lfunc_end0:
	.size	fft_rtc_back_len1350_factors_5_10_3_3_3_wgs_135_tpt_135_halfLds_half_ip_CI_sbrr_dirReg, .Lfunc_end0-fft_rtc_back_len1350_factors_5_10_3_3_3_wgs_135_tpt_135_halfLds_half_ip_CI_sbrr_dirReg
                                        ; -- End function
	.section	.AMDGPU.csdata,"",@progbits
; Kernel info:
; codeLenInByte = 8848
; NumSgprs: 28
; NumVgprs: 62
; ScratchSize: 0
; MemoryBound: 0
; FloatMode: 240
; IeeeMode: 1
; LDSByteSize: 0 bytes/workgroup (compile time only)
; SGPRBlocks: 3
; VGPRBlocks: 15
; NumSGPRsForWavesPerEU: 28
; NumVGPRsForWavesPerEU: 62
; Occupancy: 4
; WaveLimiterHint : 1
; COMPUTE_PGM_RSRC2:SCRATCH_EN: 0
; COMPUTE_PGM_RSRC2:USER_SGPR: 6
; COMPUTE_PGM_RSRC2:TRAP_HANDLER: 0
; COMPUTE_PGM_RSRC2:TGID_X_EN: 1
; COMPUTE_PGM_RSRC2:TGID_Y_EN: 0
; COMPUTE_PGM_RSRC2:TGID_Z_EN: 0
; COMPUTE_PGM_RSRC2:TIDIG_COMP_CNT: 0
	.type	__hip_cuid_167db8800747096a,@object ; @__hip_cuid_167db8800747096a
	.section	.bss,"aw",@nobits
	.globl	__hip_cuid_167db8800747096a
__hip_cuid_167db8800747096a:
	.byte	0                               ; 0x0
	.size	__hip_cuid_167db8800747096a, 1

	.ident	"AMD clang version 19.0.0git (https://github.com/RadeonOpenCompute/llvm-project roc-6.4.0 25133 c7fe45cf4b819c5991fe208aaa96edf142730f1d)"
	.section	".note.GNU-stack","",@progbits
	.addrsig
	.addrsig_sym __hip_cuid_167db8800747096a
	.amdgpu_metadata
---
amdhsa.kernels:
  - .args:
      - .actual_access:  read_only
        .address_space:  global
        .offset:         0
        .size:           8
        .value_kind:     global_buffer
      - .offset:         8
        .size:           8
        .value_kind:     by_value
      - .actual_access:  read_only
        .address_space:  global
        .offset:         16
        .size:           8
        .value_kind:     global_buffer
      - .actual_access:  read_only
        .address_space:  global
        .offset:         24
        .size:           8
        .value_kind:     global_buffer
      - .offset:         32
        .size:           8
        .value_kind:     by_value
      - .actual_access:  read_only
        .address_space:  global
        .offset:         40
        .size:           8
        .value_kind:     global_buffer
      - .actual_access:  read_only
        .address_space:  global
        .offset:         48
        .size:           8
        .value_kind:     global_buffer
      - .offset:         56
        .size:           4
        .value_kind:     by_value
      - .actual_access:  read_only
        .address_space:  global
        .offset:         64
        .size:           8
        .value_kind:     global_buffer
      - .actual_access:  read_only
        .address_space:  global
        .offset:         72
        .size:           8
        .value_kind:     global_buffer
      - .address_space:  global
        .offset:         80
        .size:           8
        .value_kind:     global_buffer
    .group_segment_fixed_size: 0
    .kernarg_segment_align: 8
    .kernarg_segment_size: 88
    .language:       OpenCL C
    .language_version:
      - 2
      - 0
    .max_flat_workgroup_size: 135
    .name:           fft_rtc_back_len1350_factors_5_10_3_3_3_wgs_135_tpt_135_halfLds_half_ip_CI_sbrr_dirReg
    .private_segment_fixed_size: 0
    .sgpr_count:     28
    .sgpr_spill_count: 0
    .symbol:         fft_rtc_back_len1350_factors_5_10_3_3_3_wgs_135_tpt_135_halfLds_half_ip_CI_sbrr_dirReg.kd
    .uniform_work_group_size: 1
    .uses_dynamic_stack: false
    .vgpr_count:     62
    .vgpr_spill_count: 0
    .wavefront_size: 64
amdhsa.target:   amdgcn-amd-amdhsa--gfx906
amdhsa.version:
  - 1
  - 2
...

	.end_amdgpu_metadata
